;; amdgpu-corpus repo=zjin-lcf/HeCBench kind=compiled arch=gfx1250 opt=O3
	.amdgcn_target "amdgcn-amd-amdhsa--gfx1250"
	.amdhsa_code_object_version 6
	.text
	.protected	_Z11rng_wallacejPfS_PKf ; -- Begin function _Z11rng_wallacejPfS_PKf
	.globl	_Z11rng_wallacejPfS_PKf
	.p2align	8
	.type	_Z11rng_wallacejPfS_PKf,@function
_Z11rng_wallacejPfS_PKf:                ; @_Z11rng_wallacejPfS_PKf
; %bb.0:
	s_bfe_u32 s2, ttmp6, 0x4000c
	s_load_b128 s[4:7], s[0:1], 0x8
	s_add_co_i32 s2, s2, 1
	s_and_b32 s3, ttmp6, 15
	s_mul_i32 s2, ttmp9, s2
	s_getreg_b32 s8, hwreg(HW_REG_IB_STS2, 6, 4)
	s_add_co_i32 s3, s3, s2
	s_cmp_eq_u32 s8, 0
	v_mov_b32_e32 v17, 0
	s_cselect_b32 s2, ttmp9, s3
	v_lshlrev_b32_e32 v1, 2, v0
	v_lshl_or_b32 v16, s2, 11, v0
	s_mov_b32 s3, exec_lo
	v_dual_mov_b32 v15, v17 :: v_dual_mov_b32 v11, v17
	s_delay_alu instid0(VALU_DEP_2)
	v_dual_mov_b32 v13, v17 :: v_dual_add_nc_u32 v14, 0x500, v16
	v_add_nc_u32_e32 v10, 0x600, v16
	v_add_nc_u32_e32 v12, 0x700, v16
	s_wait_kmcnt 0x0
	s_clause 0x7
	global_load_b32 v18, v16, s[4:5] scale_offset
	global_load_b32 v19, v16, s[4:5] offset:1024 scale_offset
	global_load_b32 v20, v16, s[4:5] offset:2048 scale_offset
	;; [unrolled: 1-line block ×4, first 2 shown]
	global_load_b32 v23, v14, s[4:5] scale_offset
	global_load_b32 v24, v10, s[4:5] scale_offset
	;; [unrolled: 1-line block ×3, first 2 shown]
	v_lshl_add_u64 v[2:3], v[16:17], 2, s[4:5]
	v_lshl_add_u64 v[4:5], v[14:15], 2, s[4:5]
	;; [unrolled: 1-line block ×4, first 2 shown]
	s_wait_loadcnt 0x6
	ds_store_2addr_stride64_b32 v1, v18, v19 offset1:4
	s_wait_loadcnt 0x4
	ds_store_2addr_stride64_b32 v1, v20, v21 offset0:8 offset1:12
	s_wait_loadcnt 0x2
	ds_store_2addr_stride64_b32 v1, v22, v23 offset0:16 offset1:20
	;; [unrolled: 2-line block ×3, first 2 shown]
	s_wait_dscnt 0x0
	s_barrier_signal -1
	s_barrier_wait -1
	v_cmpx_eq_u32_e32 0, v0
	s_cbranch_execz .LBB0_2
; %bb.1:
	s_load_b64 s[4:5], s[0:1], 0x18
	s_wait_kmcnt 0x0
	s_load_b32 s2, s[4:5], s2 offset:0x0 scale_offset
	s_wait_kmcnt 0x0
	v_mov_b32_e32 v18, s2
	ds_store_b32 v17, v18 offset:8192
.LBB0_2:
	s_or_b32 exec_lo, exec_lo, s3
	s_load_b32 s0, s[0:1], 0x0
	s_wait_xcnt 0x0
	s_movk_i32 s1, 0x1e20
	s_mov_b32 s3, 0x3f65d620
	s_wait_dscnt 0x0
	s_barrier_signal -1
	s_barrier_wait -1
	ds_load_b32 v26, v17 offset:8192
	ds_load_2addr_stride64_b32 v[18:19], v1 offset1:4
	s_mov_b32 s2, 0x1ab2ba20
	s_mov_b32 s4, 0xaede9420
	ds_load_2addr_stride64_b32 v[20:21], v1 offset0:8 offset1:12
	ds_load_2addr_stride64_b32 v[22:23], v1 offset0:16 offset1:20
	v_lshl_add_u64 v[16:17], v[16:17], 2, s[6:7]
	v_lshl_add_u64 v[10:11], v[10:11], 2, s[6:7]
	;; [unrolled: 1-line block ×4, first 2 shown]
	s_wait_kmcnt 0x0
	s_mul_i32 s0, s0, 0x19660d
	s_delay_alu instid0(SALU_CYCLE_1) | instskip(SKIP_3) | instid1(VALU_DEP_2)
	v_add3_u32 v0, 0x3c6ef35f, s0, v0
	s_mov_b32 s0, 0x1c5c20
	s_wait_dscnt 0x2
	v_mul_f32_e32 v19, v26, v19
	v_mad_u32 v24, v0, s1, 0x760
	v_mad_u32 v25, v0, s0, 0x6f8c0
	;; [unrolled: 1-line block ×5, first 2 shown]
	s_mov_b32 s0, 0x22413820
	s_mov_b32 s1, 0x9f897220
	;; [unrolled: 1-line block ×3, first 2 shown]
	v_mad_u32 v30, v0, s0, 0x2dc11980
	v_mad_u32 v31, v0, s1, 0xfc8d85a0
	;; [unrolled: 1-line block ×3, first 2 shown]
	v_and_b32_e32 v24, 0x1fe0, v24
	v_and_b32_e32 v25, 0x1fe0, v25
	;; [unrolled: 1-line block ×5, first 2 shown]
	ds_load_b32 v32, v24
	ds_load_b32 v33, v25 offset:4
	ds_load_2addr_stride64_b32 v[24:25], v1 offset0:24 offset1:28
	ds_load_b32 v28, v28 offset:16
	ds_load_b32 v29, v29 offset:20
	;; [unrolled: 1-line block ×3, first 2 shown]
	v_and_b32_e32 v30, 0x1fe0, v30
	v_and_b32_e32 v31, 0x1fe0, v31
	;; [unrolled: 1-line block ×3, first 2 shown]
	v_mul_f32_e32 v18, v26, v18
	ds_load_b32 v30, v30 offset:12
	ds_load_b32 v31, v31 offset:24
	s_wait_dscnt 0x9
	v_mul_f32_e32 v20, v26, v20
	v_dual_mul_f32 v21, v26, v21 :: v_dual_lshlrev_b32 v0, 2, v0
	s_wait_dscnt 0x8
	v_dual_mul_f32 v22, v26, v22 :: v_dual_mul_f32 v23, v26, v23
	ds_load_b32 v0, v0 offset:28
	s_wait_dscnt 0x6
	v_dual_mul_f32 v24, v26, v24 :: v_dual_mul_f32 v25, v26, v25
	v_add_f32_e32 v34, v32, v33
	s_wait_dscnt 0x4
	v_add_f32_e32 v26, v28, v29
	s_clause 0x7
	global_store_b32 v[16:17], v18, off
	global_store_b32 v[16:17], v19, off offset:1024
	global_store_b32 v[16:17], v20, off offset:2048
	;; [unrolled: 1-line block ×4, first 2 shown]
	global_store_b32 v[14:15], v23, off
	global_store_b32 v[10:11], v24, off
	;; [unrolled: 1-line block ×3, first 2 shown]
	s_wait_storecnt_dscnt 0x0
	s_barrier_signal -1
	v_add_f32_e32 v34, v34, v27
	s_barrier_wait -1
	s_wait_xcnt 0x1
	v_add_f32_e32 v10, v26, v31
	s_delay_alu instid0(VALU_DEP_2) | instskip(NEXT) | instid1(VALU_DEP_1)
	v_add_f32_e32 v11, v34, v30
	v_dual_add_f32 v10, v10, v0 :: v_dual_fmac_f32 v32, -0.5, v11
	v_fmac_f32_e32 v33, -0.5, v11
	s_wait_xcnt 0x0
	v_fma_f32 v12, v11, 0.5, -v27
	v_fma_f32 v11, v11, 0.5, -v30
	;; [unrolled: 1-line block ×4, first 2 shown]
	v_dual_fmac_f32 v31, -0.5, v10 :: v_dual_fmac_f32 v0, -0.5, v10
	ds_store_2addr_stride64_b32 v1, v32, v33 offset1:4
	ds_store_2addr_stride64_b32 v1, v12, v11 offset0:8 offset1:12
	ds_store_2addr_stride64_b32 v1, v13, v14 offset0:16 offset1:20
	ds_store_2addr_stride64_b32 v1, v31, v0 offset0:24 offset1:28
	s_wait_dscnt 0x0
	s_barrier_signal -1
	s_barrier_wait -1
	ds_load_2addr_stride64_b32 v[10:11], v1 offset1:4
	ds_load_2addr_stride64_b32 v[12:13], v1 offset0:8 offset1:12
	ds_load_2addr_stride64_b32 v[14:15], v1 offset0:16 offset1:20
	;; [unrolled: 1-line block ×3, first 2 shown]
	s_wait_dscnt 0x3
	s_clause 0x1
	global_store_b32 v[2:3], v10, off
	global_store_b32 v[2:3], v11, off offset:1024
	s_wait_dscnt 0x2
	s_clause 0x1
	global_store_b32 v[2:3], v12, off offset:2048
	global_store_b32 v[2:3], v13, off offset:3072
	s_wait_dscnt 0x1
	s_clause 0x1
	global_store_b32 v[2:3], v14, off offset:4096
	global_store_b32 v[4:5], v15, off
	s_wait_dscnt 0x0
	s_clause 0x1
	global_store_b32 v[6:7], v0, off
	global_store_b32 v[8:9], v1, off
	s_endpgm
	.section	.rodata,"a",@progbits
	.p2align	6, 0x0
	.amdhsa_kernel _Z11rng_wallacejPfS_PKf
		.amdhsa_group_segment_fixed_size 8196
		.amdhsa_private_segment_fixed_size 0
		.amdhsa_kernarg_size 32
		.amdhsa_user_sgpr_count 2
		.amdhsa_user_sgpr_dispatch_ptr 0
		.amdhsa_user_sgpr_queue_ptr 0
		.amdhsa_user_sgpr_kernarg_segment_ptr 1
		.amdhsa_user_sgpr_dispatch_id 0
		.amdhsa_user_sgpr_kernarg_preload_length 0
		.amdhsa_user_sgpr_kernarg_preload_offset 0
		.amdhsa_user_sgpr_private_segment_size 0
		.amdhsa_wavefront_size32 1
		.amdhsa_uses_dynamic_stack 0
		.amdhsa_enable_private_segment 0
		.amdhsa_system_sgpr_workgroup_id_x 1
		.amdhsa_system_sgpr_workgroup_id_y 0
		.amdhsa_system_sgpr_workgroup_id_z 0
		.amdhsa_system_sgpr_workgroup_info 0
		.amdhsa_system_vgpr_workitem_id 0
		.amdhsa_next_free_vgpr 35
		.amdhsa_next_free_sgpr 9
		.amdhsa_named_barrier_count 0
		.amdhsa_reserve_vcc 0
		.amdhsa_float_round_mode_32 0
		.amdhsa_float_round_mode_16_64 0
		.amdhsa_float_denorm_mode_32 3
		.amdhsa_float_denorm_mode_16_64 3
		.amdhsa_fp16_overflow 0
		.amdhsa_memory_ordered 1
		.amdhsa_forward_progress 1
		.amdhsa_inst_pref_size 10
		.amdhsa_round_robin_scheduling 0
		.amdhsa_exception_fp_ieee_invalid_op 0
		.amdhsa_exception_fp_denorm_src 0
		.amdhsa_exception_fp_ieee_div_zero 0
		.amdhsa_exception_fp_ieee_overflow 0
		.amdhsa_exception_fp_ieee_underflow 0
		.amdhsa_exception_fp_ieee_inexact 0
		.amdhsa_exception_int_div_zero 0
	.end_amdhsa_kernel
	.text
.Lfunc_end0:
	.size	_Z11rng_wallacejPfS_PKf, .Lfunc_end0-_Z11rng_wallacejPfS_PKf
                                        ; -- End function
	.set _Z11rng_wallacejPfS_PKf.num_vgpr, 35
	.set _Z11rng_wallacejPfS_PKf.num_agpr, 0
	.set _Z11rng_wallacejPfS_PKf.numbered_sgpr, 9
	.set _Z11rng_wallacejPfS_PKf.num_named_barrier, 0
	.set _Z11rng_wallacejPfS_PKf.private_seg_size, 0
	.set _Z11rng_wallacejPfS_PKf.uses_vcc, 0
	.set _Z11rng_wallacejPfS_PKf.uses_flat_scratch, 0
	.set _Z11rng_wallacejPfS_PKf.has_dyn_sized_stack, 0
	.set _Z11rng_wallacejPfS_PKf.has_recursion, 0
	.set _Z11rng_wallacejPfS_PKf.has_indirect_call, 0
	.section	.AMDGPU.csdata,"",@progbits
; Kernel info:
; codeLenInByte = 1224
; TotalNumSgprs: 9
; NumVgprs: 35
; ScratchSize: 0
; MemoryBound: 0
; FloatMode: 240
; IeeeMode: 1
; LDSByteSize: 8196 bytes/workgroup (compile time only)
; SGPRBlocks: 0
; VGPRBlocks: 2
; NumSGPRsForWavesPerEU: 9
; NumVGPRsForWavesPerEU: 35
; NamedBarCnt: 0
; Occupancy: 16
; WaveLimiterHint : 1
; COMPUTE_PGM_RSRC2:SCRATCH_EN: 0
; COMPUTE_PGM_RSRC2:USER_SGPR: 2
; COMPUTE_PGM_RSRC2:TRAP_HANDLER: 0
; COMPUTE_PGM_RSRC2:TGID_X_EN: 1
; COMPUTE_PGM_RSRC2:TGID_Y_EN: 0
; COMPUTE_PGM_RSRC2:TGID_Z_EN: 0
; COMPUTE_PGM_RSRC2:TIDIG_COMP_CNT: 0
	.text
	.p2alignl 7, 3214868480
	.fill 96, 4, 3214868480
	.section	.AMDGPU.gpr_maximums,"",@progbits
	.set amdgpu.max_num_vgpr, 0
	.set amdgpu.max_num_agpr, 0
	.set amdgpu.max_num_sgpr, 0
	.text
	.type	__hip_cuid_768c930ce9681cae,@object ; @__hip_cuid_768c930ce9681cae
	.section	.bss,"aw",@nobits
	.globl	__hip_cuid_768c930ce9681cae
__hip_cuid_768c930ce9681cae:
	.byte	0                               ; 0x0
	.size	__hip_cuid_768c930ce9681cae, 1

	.ident	"AMD clang version 22.0.0git (https://github.com/RadeonOpenCompute/llvm-project roc-7.2.4 26084 f58b06dce1f9c15707c5f808fd002e18c2accf7e)"
	.section	".note.GNU-stack","",@progbits
	.addrsig
	.addrsig_sym __hip_cuid_768c930ce9681cae
	.amdgpu_metadata
---
amdhsa.kernels:
  - .args:
      - .offset:         0
        .size:           4
        .value_kind:     by_value
      - .address_space:  global
        .offset:         8
        .size:           8
        .value_kind:     global_buffer
      - .actual_access:  write_only
        .address_space:  global
        .offset:         16
        .size:           8
        .value_kind:     global_buffer
      - .address_space:  global
        .offset:         24
        .size:           8
        .value_kind:     global_buffer
    .group_segment_fixed_size: 8196
    .kernarg_segment_align: 8
    .kernarg_segment_size: 32
    .language:       OpenCL C
    .language_version:
      - 2
      - 0
    .max_flat_workgroup_size: 1024
    .name:           _Z11rng_wallacejPfS_PKf
    .private_segment_fixed_size: 0
    .sgpr_count:     9
    .sgpr_spill_count: 0
    .symbol:         _Z11rng_wallacejPfS_PKf.kd
    .uniform_work_group_size: 1
    .uses_dynamic_stack: false
    .vgpr_count:     35
    .vgpr_spill_count: 0
    .wavefront_size: 32
amdhsa.target:   amdgcn-amd-amdhsa--gfx1250
amdhsa.version:
  - 1
  - 2
...

	.end_amdgpu_metadata
